;; amdgpu-corpus repo=ROCm/rocFFT kind=compiled arch=gfx1201 opt=O3
	.text
	.amdgcn_target "amdgcn-amd-amdhsa--gfx1201"
	.amdhsa_code_object_version 6
	.protected	fft_rtc_fwd_len792_factors_2_2_2_3_3_11_wgs_176_tpt_88_sp_op_CI_CI_unitstride_sbrr_dirReg ; -- Begin function fft_rtc_fwd_len792_factors_2_2_2_3_3_11_wgs_176_tpt_88_sp_op_CI_CI_unitstride_sbrr_dirReg
	.globl	fft_rtc_fwd_len792_factors_2_2_2_3_3_11_wgs_176_tpt_88_sp_op_CI_CI_unitstride_sbrr_dirReg
	.p2align	8
	.type	fft_rtc_fwd_len792_factors_2_2_2_3_3_11_wgs_176_tpt_88_sp_op_CI_CI_unitstride_sbrr_dirReg,@function
fft_rtc_fwd_len792_factors_2_2_2_3_3_11_wgs_176_tpt_88_sp_op_CI_CI_unitstride_sbrr_dirReg: ; @fft_rtc_fwd_len792_factors_2_2_2_3_3_11_wgs_176_tpt_88_sp_op_CI_CI_unitstride_sbrr_dirReg
; %bb.0:
	s_clause 0x2
	s_load_b128 s[8:11], s[0:1], 0x0
	s_load_b128 s[4:7], s[0:1], 0x58
	;; [unrolled: 1-line block ×3, first 2 shown]
	v_mul_u32_u24_e32 v1, 0x2e9, v0
	v_mov_b32_e32 v3, 0
	s_delay_alu instid0(VALU_DEP_2) | instskip(SKIP_2) | instid1(VALU_DEP_4)
	v_lshrrev_b32_e32 v19, 16, v1
	v_mov_b32_e32 v1, 0
	v_mov_b32_e32 v2, 0
	;; [unrolled: 1-line block ×3, first 2 shown]
	s_delay_alu instid0(VALU_DEP_4) | instskip(SKIP_2) | instid1(VALU_DEP_1)
	v_lshl_add_u32 v5, ttmp9, 1, v19
	s_wait_kmcnt 0x0
	v_cmp_lt_u64_e64 s2, s[10:11], 2
	s_and_b32 vcc_lo, exec_lo, s2
	s_cbranch_vccnz .LBB0_8
; %bb.1:
	s_load_b64 s[2:3], s[0:1], 0x10
	v_mov_b32_e32 v1, 0
	v_mov_b32_e32 v2, 0
	s_add_nc_u64 s[16:17], s[14:15], 8
	s_add_nc_u64 s[18:19], s[12:13], 8
	s_mov_b64 s[20:21], 1
	s_delay_alu instid0(VALU_DEP_1)
	v_dual_mov_b32 v21, v2 :: v_dual_mov_b32 v20, v1
	s_wait_kmcnt 0x0
	s_add_nc_u64 s[22:23], s[2:3], 8
	s_mov_b32 s3, 0
.LBB0_2:                                ; =>This Inner Loop Header: Depth=1
	s_load_b64 s[24:25], s[22:23], 0x0
                                        ; implicit-def: $vgpr23_vgpr24
	s_mov_b32 s2, exec_lo
	s_wait_kmcnt 0x0
	v_or_b32_e32 v4, s25, v6
	s_delay_alu instid0(VALU_DEP_1)
	v_cmpx_ne_u64_e32 0, v[3:4]
	s_wait_alu 0xfffe
	s_xor_b32 s26, exec_lo, s2
	s_cbranch_execz .LBB0_4
; %bb.3:                                ;   in Loop: Header=BB0_2 Depth=1
	s_cvt_f32_u32 s2, s24
	s_cvt_f32_u32 s27, s25
	s_sub_nc_u64 s[30:31], 0, s[24:25]
	s_wait_alu 0xfffe
	s_delay_alu instid0(SALU_CYCLE_1) | instskip(SKIP_1) | instid1(SALU_CYCLE_2)
	s_fmamk_f32 s2, s27, 0x4f800000, s2
	s_wait_alu 0xfffe
	v_s_rcp_f32 s2, s2
	s_delay_alu instid0(TRANS32_DEP_1) | instskip(SKIP_1) | instid1(SALU_CYCLE_2)
	s_mul_f32 s2, s2, 0x5f7ffffc
	s_wait_alu 0xfffe
	s_mul_f32 s27, s2, 0x2f800000
	s_wait_alu 0xfffe
	s_delay_alu instid0(SALU_CYCLE_2) | instskip(SKIP_1) | instid1(SALU_CYCLE_2)
	s_trunc_f32 s27, s27
	s_wait_alu 0xfffe
	s_fmamk_f32 s2, s27, 0xcf800000, s2
	s_cvt_u32_f32 s29, s27
	s_wait_alu 0xfffe
	s_delay_alu instid0(SALU_CYCLE_1) | instskip(SKIP_1) | instid1(SALU_CYCLE_2)
	s_cvt_u32_f32 s28, s2
	s_wait_alu 0xfffe
	s_mul_u64 s[34:35], s[30:31], s[28:29]
	s_wait_alu 0xfffe
	s_mul_hi_u32 s37, s28, s35
	s_mul_i32 s36, s28, s35
	s_mul_hi_u32 s2, s28, s34
	s_mul_i32 s33, s29, s34
	s_wait_alu 0xfffe
	s_add_nc_u64 s[36:37], s[2:3], s[36:37]
	s_mul_hi_u32 s27, s29, s34
	s_mul_hi_u32 s38, s29, s35
	s_add_co_u32 s2, s36, s33
	s_wait_alu 0xfffe
	s_add_co_ci_u32 s2, s37, s27
	s_mul_i32 s34, s29, s35
	s_add_co_ci_u32 s35, s38, 0
	s_wait_alu 0xfffe
	s_add_nc_u64 s[34:35], s[2:3], s[34:35]
	s_wait_alu 0xfffe
	v_add_co_u32 v4, s2, s28, s34
	s_delay_alu instid0(VALU_DEP_1) | instskip(SKIP_1) | instid1(VALU_DEP_1)
	s_cmp_lg_u32 s2, 0
	s_add_co_ci_u32 s29, s29, s35
	v_readfirstlane_b32 s28, v4
	s_wait_alu 0xfffe
	s_delay_alu instid0(VALU_DEP_1)
	s_mul_u64 s[30:31], s[30:31], s[28:29]
	s_wait_alu 0xfffe
	s_mul_hi_u32 s35, s28, s31
	s_mul_i32 s34, s28, s31
	s_mul_hi_u32 s2, s28, s30
	s_mul_i32 s33, s29, s30
	s_wait_alu 0xfffe
	s_add_nc_u64 s[34:35], s[2:3], s[34:35]
	s_mul_hi_u32 s27, s29, s30
	s_mul_hi_u32 s28, s29, s31
	s_wait_alu 0xfffe
	s_add_co_u32 s2, s34, s33
	s_add_co_ci_u32 s2, s35, s27
	s_mul_i32 s30, s29, s31
	s_add_co_ci_u32 s31, s28, 0
	s_wait_alu 0xfffe
	s_add_nc_u64 s[30:31], s[2:3], s[30:31]
	s_wait_alu 0xfffe
	v_add_co_u32 v4, s2, v4, s30
	s_delay_alu instid0(VALU_DEP_1) | instskip(SKIP_1) | instid1(VALU_DEP_1)
	s_cmp_lg_u32 s2, 0
	s_add_co_ci_u32 s2, s29, s31
	v_mul_hi_u32 v13, v5, v4
	s_wait_alu 0xfffe
	v_mad_co_u64_u32 v[7:8], null, v5, s2, 0
	v_mad_co_u64_u32 v[9:10], null, v6, v4, 0
	;; [unrolled: 1-line block ×3, first 2 shown]
	s_delay_alu instid0(VALU_DEP_3) | instskip(SKIP_1) | instid1(VALU_DEP_4)
	v_add_co_u32 v4, vcc_lo, v13, v7
	s_wait_alu 0xfffd
	v_add_co_ci_u32_e32 v7, vcc_lo, 0, v8, vcc_lo
	s_delay_alu instid0(VALU_DEP_2) | instskip(SKIP_1) | instid1(VALU_DEP_2)
	v_add_co_u32 v4, vcc_lo, v4, v9
	s_wait_alu 0xfffd
	v_add_co_ci_u32_e32 v4, vcc_lo, v7, v10, vcc_lo
	s_wait_alu 0xfffd
	v_add_co_ci_u32_e32 v7, vcc_lo, 0, v12, vcc_lo
	s_delay_alu instid0(VALU_DEP_2) | instskip(SKIP_1) | instid1(VALU_DEP_2)
	v_add_co_u32 v4, vcc_lo, v4, v11
	s_wait_alu 0xfffd
	v_add_co_ci_u32_e32 v9, vcc_lo, 0, v7, vcc_lo
	s_delay_alu instid0(VALU_DEP_2) | instskip(SKIP_1) | instid1(VALU_DEP_3)
	v_mul_lo_u32 v10, s25, v4
	v_mad_co_u64_u32 v[7:8], null, s24, v4, 0
	v_mul_lo_u32 v11, s24, v9
	s_delay_alu instid0(VALU_DEP_2) | instskip(NEXT) | instid1(VALU_DEP_2)
	v_sub_co_u32 v7, vcc_lo, v5, v7
	v_add3_u32 v8, v8, v11, v10
	s_delay_alu instid0(VALU_DEP_1) | instskip(SKIP_1) | instid1(VALU_DEP_1)
	v_sub_nc_u32_e32 v10, v6, v8
	s_wait_alu 0xfffd
	v_subrev_co_ci_u32_e64 v10, s2, s25, v10, vcc_lo
	v_add_co_u32 v11, s2, v4, 2
	s_wait_alu 0xf1ff
	v_add_co_ci_u32_e64 v12, s2, 0, v9, s2
	v_sub_co_u32 v13, s2, v7, s24
	v_sub_co_ci_u32_e32 v8, vcc_lo, v6, v8, vcc_lo
	s_wait_alu 0xf1ff
	v_subrev_co_ci_u32_e64 v10, s2, 0, v10, s2
	s_delay_alu instid0(VALU_DEP_3) | instskip(NEXT) | instid1(VALU_DEP_3)
	v_cmp_le_u32_e32 vcc_lo, s24, v13
	v_cmp_eq_u32_e64 s2, s25, v8
	s_wait_alu 0xfffd
	v_cndmask_b32_e64 v13, 0, -1, vcc_lo
	v_cmp_le_u32_e32 vcc_lo, s25, v10
	s_wait_alu 0xfffd
	v_cndmask_b32_e64 v14, 0, -1, vcc_lo
	v_cmp_le_u32_e32 vcc_lo, s24, v7
	;; [unrolled: 3-line block ×3, first 2 shown]
	s_wait_alu 0xfffd
	v_cndmask_b32_e64 v15, 0, -1, vcc_lo
	v_cmp_eq_u32_e32 vcc_lo, s25, v10
	s_wait_alu 0xf1ff
	s_delay_alu instid0(VALU_DEP_2)
	v_cndmask_b32_e64 v7, v15, v7, s2
	s_wait_alu 0xfffd
	v_cndmask_b32_e32 v10, v14, v13, vcc_lo
	v_add_co_u32 v13, vcc_lo, v4, 1
	s_wait_alu 0xfffd
	v_add_co_ci_u32_e32 v14, vcc_lo, 0, v9, vcc_lo
	s_delay_alu instid0(VALU_DEP_3) | instskip(SKIP_2) | instid1(VALU_DEP_3)
	v_cmp_ne_u32_e32 vcc_lo, 0, v10
	s_wait_alu 0xfffd
	v_cndmask_b32_e32 v10, v13, v11, vcc_lo
	v_cndmask_b32_e32 v8, v14, v12, vcc_lo
	v_cmp_ne_u32_e32 vcc_lo, 0, v7
	s_wait_alu 0xfffd
	s_delay_alu instid0(VALU_DEP_2)
	v_dual_cndmask_b32 v23, v4, v10 :: v_dual_cndmask_b32 v24, v9, v8
.LBB0_4:                                ;   in Loop: Header=BB0_2 Depth=1
	s_wait_alu 0xfffe
	s_and_not1_saveexec_b32 s2, s26
	s_cbranch_execz .LBB0_6
; %bb.5:                                ;   in Loop: Header=BB0_2 Depth=1
	v_cvt_f32_u32_e32 v4, s24
	s_sub_co_i32 s26, 0, s24
	v_mov_b32_e32 v24, v3
	s_delay_alu instid0(VALU_DEP_2) | instskip(NEXT) | instid1(TRANS32_DEP_1)
	v_rcp_iflag_f32_e32 v4, v4
	v_mul_f32_e32 v4, 0x4f7ffffe, v4
	s_delay_alu instid0(VALU_DEP_1) | instskip(SKIP_1) | instid1(VALU_DEP_1)
	v_cvt_u32_f32_e32 v4, v4
	s_wait_alu 0xfffe
	v_mul_lo_u32 v7, s26, v4
	s_delay_alu instid0(VALU_DEP_1) | instskip(NEXT) | instid1(VALU_DEP_1)
	v_mul_hi_u32 v7, v4, v7
	v_add_nc_u32_e32 v4, v4, v7
	s_delay_alu instid0(VALU_DEP_1) | instskip(NEXT) | instid1(VALU_DEP_1)
	v_mul_hi_u32 v4, v5, v4
	v_mul_lo_u32 v7, v4, s24
	v_add_nc_u32_e32 v8, 1, v4
	s_delay_alu instid0(VALU_DEP_2) | instskip(NEXT) | instid1(VALU_DEP_1)
	v_sub_nc_u32_e32 v7, v5, v7
	v_subrev_nc_u32_e32 v9, s24, v7
	v_cmp_le_u32_e32 vcc_lo, s24, v7
	s_wait_alu 0xfffd
	s_delay_alu instid0(VALU_DEP_2) | instskip(NEXT) | instid1(VALU_DEP_1)
	v_dual_cndmask_b32 v7, v7, v9 :: v_dual_cndmask_b32 v4, v4, v8
	v_cmp_le_u32_e32 vcc_lo, s24, v7
	s_delay_alu instid0(VALU_DEP_2) | instskip(SKIP_1) | instid1(VALU_DEP_1)
	v_add_nc_u32_e32 v8, 1, v4
	s_wait_alu 0xfffd
	v_cndmask_b32_e32 v23, v4, v8, vcc_lo
.LBB0_6:                                ;   in Loop: Header=BB0_2 Depth=1
	s_wait_alu 0xfffe
	s_or_b32 exec_lo, exec_lo, s2
	v_mul_lo_u32 v4, v24, s24
	s_delay_alu instid0(VALU_DEP_2)
	v_mul_lo_u32 v9, v23, s25
	s_load_b64 s[26:27], s[18:19], 0x0
	v_mad_co_u64_u32 v[7:8], null, v23, s24, 0
	s_load_b64 s[24:25], s[16:17], 0x0
	s_add_nc_u64 s[20:21], s[20:21], 1
	s_add_nc_u64 s[16:17], s[16:17], 8
	s_wait_alu 0xfffe
	v_cmp_ge_u64_e64 s2, s[20:21], s[10:11]
	s_add_nc_u64 s[18:19], s[18:19], 8
	s_add_nc_u64 s[22:23], s[22:23], 8
	v_add3_u32 v4, v8, v9, v4
	v_sub_co_u32 v5, vcc_lo, v5, v7
	s_wait_alu 0xfffd
	s_delay_alu instid0(VALU_DEP_2) | instskip(SKIP_2) | instid1(VALU_DEP_1)
	v_sub_co_ci_u32_e32 v4, vcc_lo, v6, v4, vcc_lo
	s_and_b32 vcc_lo, exec_lo, s2
	s_wait_kmcnt 0x0
	v_mul_lo_u32 v6, s26, v4
	v_mul_lo_u32 v7, s27, v5
	v_mad_co_u64_u32 v[1:2], null, s26, v5, v[1:2]
	v_mul_lo_u32 v4, s24, v4
	v_mul_lo_u32 v8, s25, v5
	v_mad_co_u64_u32 v[20:21], null, s24, v5, v[20:21]
	s_delay_alu instid0(VALU_DEP_4) | instskip(NEXT) | instid1(VALU_DEP_2)
	v_add3_u32 v2, v7, v2, v6
	v_add3_u32 v21, v8, v21, v4
	s_wait_alu 0xfffe
	s_cbranch_vccnz .LBB0_9
; %bb.7:                                ;   in Loop: Header=BB0_2 Depth=1
	v_dual_mov_b32 v5, v23 :: v_dual_mov_b32 v6, v24
	s_branch .LBB0_2
.LBB0_8:
	v_dual_mov_b32 v21, v2 :: v_dual_mov_b32 v20, v1
	v_dual_mov_b32 v24, v6 :: v_dual_mov_b32 v23, v5
.LBB0_9:
	s_load_b64 s[0:1], s[0:1], 0x28
	v_mul_hi_u32 v5, 0x2e8ba2f, v0
	s_lshl_b64 s[10:11], s[10:11], 3
                                        ; implicit-def: $vgpr22
	s_wait_alu 0xfffe
	s_add_nc_u64 s[2:3], s[14:15], s[10:11]
                                        ; implicit-def: $sgpr14
	s_wait_kmcnt 0x0
	v_cmp_gt_u64_e32 vcc_lo, s[0:1], v[23:24]
	v_cmp_le_u64_e64 s0, s[0:1], v[23:24]
	s_delay_alu instid0(VALU_DEP_1)
	s_and_saveexec_b32 s1, s0
	s_wait_alu 0xfffe
	s_xor_b32 s0, exec_lo, s1
; %bb.10:
	v_mul_u32_u24_e32 v1, 0x58, v5
	s_mov_b32 s14, 0
                                        ; implicit-def: $vgpr5
	s_delay_alu instid0(VALU_DEP_1)
	v_sub_nc_u32_e32 v22, v0, v1
                                        ; implicit-def: $vgpr0
                                        ; implicit-def: $vgpr1_vgpr2
; %bb.11:
	s_wait_alu 0xfffe
	s_or_saveexec_b32 s1, s0
	s_load_b64 s[2:3], s[2:3], 0x0
	v_dual_mov_b32 v4, s14 :: v_dual_mov_b32 v3, s14
                                        ; implicit-def: $vgpr10
                                        ; implicit-def: $vgpr28
                                        ; implicit-def: $vgpr12
                                        ; implicit-def: $vgpr26
                                        ; implicit-def: $vgpr6
                                        ; implicit-def: $vgpr14
                                        ; implicit-def: $vgpr8
                                        ; implicit-def: $vgpr18
                                        ; implicit-def: $vgpr16
	s_xor_b32 exec_lo, exec_lo, s1
	s_cbranch_execz .LBB0_15
; %bb.12:
	s_add_nc_u64 s[10:11], s[12:13], s[10:11]
	v_mul_u32_u24_e32 v5, 0x58, v5
	s_load_b64 s[10:11], s[10:11], 0x0
	v_lshlrev_b64_e32 v[1:2], 3, v[1:2]
                                        ; implicit-def: $vgpr17
	s_delay_alu instid0(VALU_DEP_2) | instskip(SKIP_4) | instid1(VALU_DEP_1)
	v_sub_nc_u32_e32 v22, v0, v5
	s_wait_kmcnt 0x0
	v_mul_lo_u32 v6, s11, v23
	v_mul_lo_u32 v7, s10, v24
	v_mad_co_u64_u32 v[3:4], null, s10, v23, 0
	v_add3_u32 v4, v4, v7, v6
	s_delay_alu instid0(VALU_DEP_1) | instskip(NEXT) | instid1(VALU_DEP_1)
	v_lshlrev_b64_e32 v[3:4], 3, v[3:4]
	v_add_co_u32 v0, s0, s4, v3
	s_wait_alu 0xf1ff
	s_delay_alu instid0(VALU_DEP_2) | instskip(SKIP_1) | instid1(VALU_DEP_3)
	v_add_co_ci_u32_e64 v3, s0, s5, v4, s0
	v_lshlrev_b32_e32 v4, 3, v22
	v_add_co_u32 v0, s0, v0, v1
	s_wait_alu 0xf1ff
	s_delay_alu instid0(VALU_DEP_3) | instskip(SKIP_1) | instid1(VALU_DEP_3)
	v_add_co_ci_u32_e64 v1, s0, v3, v2, s0
	v_mov_b32_e32 v3, 0
	v_add_co_u32 v0, s0, v0, v4
	s_wait_alu 0xf1ff
	s_delay_alu instid0(VALU_DEP_3)
	v_add_co_ci_u32_e64 v1, s0, 0, v1, s0
	v_mov_b32_e32 v4, 0
	s_clause 0x7
	global_load_b64 v[9:10], v[0:1], off
	global_load_b64 v[11:12], v[0:1], off offset:704
	global_load_b64 v[5:6], v[0:1], off offset:1408
	;; [unrolled: 1-line block ×7, first 2 shown]
	s_mov_b32 s4, exec_lo
	v_cmpx_gt_u32_e32 44, v22
; %bb.13:
	s_clause 0x1
	global_load_b64 v[3:4], v[0:1], off offset:2816
	global_load_b64 v[17:18], v[0:1], off offset:5984
; %bb.14:
	s_wait_alu 0xfffe
	s_or_b32 exec_lo, exec_lo, s4
.LBB0_15:
	s_delay_alu instid0(SALU_CYCLE_1)
	s_or_b32 exec_lo, exec_lo, s1
	s_wait_loadcnt 0x3
	v_dual_sub_f32 v1, v10, v28 :: v_dual_and_b32 v2, 1, v19
	s_wait_loadcnt 0x2
	v_dual_sub_f32 v0, v9, v27 :: v_dual_sub_f32 v27, v11, v25
	s_wait_loadcnt 0x1
	v_dual_sub_f32 v34, v5, v13 :: v_dual_sub_f32 v35, v6, v14
	v_cmp_eq_u32_e64 s0, 1, v2
	s_wait_loadcnt 0x0
	v_dual_sub_f32 v14, v3, v17 :: v_dual_add_nc_u32 v31, 0xb0, v22
	v_sub_f32_e32 v28, v12, v26
	v_add_nc_u32_e32 v30, 0x58, v22
	s_wait_alu 0xf1ff
	v_cndmask_b32_e64 v2, 0, 0x318, s0
	v_add_nc_u32_e32 v26, 0x108, v22
	v_fma_f32 v32, v11, 2.0, -v27
	v_lshlrev_b32_e32 v11, 4, v31
	v_fma_f32 v33, v12, 2.0, -v28
	v_dual_sub_f32 v36, v7, v15 :: v_dual_sub_f32 v37, v8, v16
	v_sub_f32_e32 v15, v4, v18
	v_fma_f32 v12, v3, 2.0, -v14
	v_lshlrev_b32_e32 v3, 4, v22
	v_lshlrev_b32_e32 v29, 3, v2
	;; [unrolled: 1-line block ×4, first 2 shown]
	v_fma_f32 v9, v9, 2.0, -v0
	v_fma_f32 v10, v10, 2.0, -v1
	v_fma_f32 v13, v4, 2.0, -v15
	v_add3_u32 v3, 0, v3, v29
	v_add_nc_u32_e32 v25, 0x160, v22
	v_cmp_gt_u32_e64 s0, 44, v22
	v_add3_u32 v2, 0, v2, v29
	v_fma_f32 v5, v5, 2.0, -v34
	v_fma_f32 v6, v6, 2.0, -v35
	v_add3_u32 v4, 0, v11, v29
	v_fma_f32 v7, v7, 2.0, -v36
	v_fma_f32 v8, v8, 2.0, -v37
	v_add3_u32 v11, 0, v16, v29
	ds_store_2addr_b64 v3, v[9:10], v[0:1] offset1:1
	ds_store_2addr_b64 v2, v[32:33], v[27:28] offset1:1
	;; [unrolled: 1-line block ×4, first 2 shown]
	s_and_saveexec_b32 s1, s0
	s_cbranch_execz .LBB0_17
; %bb.16:
	v_lshlrev_b32_e32 v0, 4, v25
	s_delay_alu instid0(VALU_DEP_1)
	v_add3_u32 v0, 0, v0, v29
	ds_store_2addr_b64 v0, v[12:13], v[14:15] offset1:1
.LBB0_17:
	s_wait_alu 0xfffe
	s_or_b32 exec_lo, exec_lo, s1
	v_lshlrev_b32_e32 v0, 3, v22
	global_wb scope:SCOPE_SE
	s_wait_dscnt 0x0
	s_wait_kmcnt 0x0
	s_barrier_signal -1
	s_barrier_wait -1
	global_inv scope:SCOPE_SE
	v_add3_u32 v27, 0, v0, v29
	v_add3_u32 v28, 0, v29, v0
	v_lshlrev_b32_e32 v35, 1, v22
	v_lshlrev_b32_e32 v34, 1, v30
	;; [unrolled: 1-line block ×3, first 2 shown]
	v_add_nc_u32_e32 v1, 0x800, v27
	v_add_nc_u32_e32 v8, 0xc00, v27
	v_lshlrev_b32_e32 v32, 1, v26
	ds_load_2addr_b64 v[4:7], v27 offset0:88 offset1:176
	ds_load_2addr_b64 v[0:3], v1 offset0:8 offset1:140
	;; [unrolled: 1-line block ×3, first 2 shown]
	ds_load_b64 v[18:19], v28
	ds_load_b64 v[16:17], v27 offset:5280
	s_and_saveexec_b32 s1, s0
	s_cbranch_execz .LBB0_19
; %bb.18:
	ds_load_b64 v[12:13], v27 offset:2816
	ds_load_b64 v[14:15], v27 offset:5984
.LBB0_19:
	s_wait_alu 0xfffe
	s_or_b32 exec_lo, exec_lo, s1
	v_and_b32_e32 v26, 1, v22
	s_delay_alu instid0(VALU_DEP_1)
	v_lshlrev_b32_e32 v36, 3, v26
	global_load_b64 v[37:38], v36, s[8:9]
	v_lshlrev_b32_e32 v36, 1, v25
	global_wb scope:SCOPE_SE
	s_wait_loadcnt_dscnt 0x0
	s_barrier_signal -1
	s_barrier_wait -1
	global_inv scope:SCOPE_SE
	v_mul_f32_e32 v43, v38, v2
	v_mul_f32_e32 v45, v38, v8
	v_and_or_b32 v39, 0x1fc, v34, v26
	v_and_or_b32 v25, 0xfc, v35, v26
	;; [unrolled: 1-line block ×3, first 2 shown]
	v_mul_f32_e32 v44, v38, v9
	v_and_or_b32 v40, 0x3fc, v33, v26
	v_lshlrev_b32_e32 v39, 3, v39
	v_dual_mul_f32 v42, v38, v3 :: v_dual_lshlrev_b32 v25, 3, v25
	v_dual_mul_f32 v46, v38, v11 :: v_dual_lshlrev_b32 v41, 3, v41
	v_dual_mul_f32 v48, v38, v17 :: v_dual_fmac_f32 v43, v37, v3
	v_dual_mul_f32 v50, v15, v38 :: v_dual_fmac_f32 v45, v37, v9
	v_fma_f32 v8, v37, v8, -v44
	v_dual_mul_f32 v51, v14, v38 :: v_dual_lshlrev_b32 v40, 3, v40
	v_mul_f32_e32 v47, v38, v10
	v_mul_f32_e32 v49, v38, v16
	v_fma_f32 v2, v37, v2, -v42
	v_fma_f32 v10, v37, v10, -v46
	;; [unrolled: 1-line block ×4, first 2 shown]
	v_dual_sub_f32 v8, v4, v8 :: v_dual_fmac_f32 v51, v15, v37
	v_dual_fmac_f32 v47, v37, v11 :: v_dual_sub_f32 v2, v18, v2
	v_dual_fmac_f32 v49, v37, v17 :: v_dual_sub_f32 v10, v6, v10
	v_sub_f32_e32 v3, v19, v43
	v_sub_f32_e32 v37, v0, v16
	;; [unrolled: 1-line block ×3, first 2 shown]
	s_delay_alu instid0(VALU_DEP_4)
	v_sub_f32_e32 v38, v1, v49
	v_sub_f32_e32 v17, v13, v51
	;; [unrolled: 1-line block ×4, first 2 shown]
	v_add3_u32 v25, 0, v25, v29
	v_fma_f32 v18, v18, 2.0, -v2
	v_fma_f32 v19, v19, 2.0, -v3
	;; [unrolled: 1-line block ×4, first 2 shown]
	v_add3_u32 v39, 0, v39, v29
	v_fma_f32 v4, v4, 2.0, -v8
	v_fma_f32 v5, v5, 2.0, -v9
	v_add3_u32 v40, 0, v40, v29
	v_fma_f32 v6, v6, 2.0, -v10
	v_fma_f32 v7, v7, 2.0, -v11
	;; [unrolled: 3-line block ×3, first 2 shown]
	ds_store_2addr_b64 v25, v[18:19], v[2:3] offset1:2
	ds_store_2addr_b64 v39, v[4:5], v[8:9] offset1:2
	;; [unrolled: 1-line block ×4, first 2 shown]
	s_and_saveexec_b32 s1, s0
	s_cbranch_execz .LBB0_21
; %bb.20:
	v_and_or_b32 v0, 0x3fc, v36, v26
	s_delay_alu instid0(VALU_DEP_1) | instskip(NEXT) | instid1(VALU_DEP_1)
	v_lshlrev_b32_e32 v0, 3, v0
	v_add3_u32 v0, 0, v0, v29
	ds_store_2addr_b64 v0, v[14:15], v[16:17] offset1:2
.LBB0_21:
	s_wait_alu 0xfffe
	s_or_b32 exec_lo, exec_lo, s1
	v_add_nc_u32_e32 v0, 0x800, v27
	v_add_nc_u32_e32 v9, 0xc00, v27
	global_wb scope:SCOPE_SE
	s_wait_dscnt 0x0
	s_barrier_signal -1
	s_barrier_wait -1
	global_inv scope:SCOPE_SE
	ds_load_2addr_b64 v[1:4], v0 offset0:8 offset1:140
	ds_load_2addr_b64 v[5:8], v27 offset0:88 offset1:176
	;; [unrolled: 1-line block ×3, first 2 shown]
	ds_load_b64 v[18:19], v28
	ds_load_b64 v[25:26], v27 offset:5280
	s_and_saveexec_b32 s1, s0
	s_cbranch_execz .LBB0_23
; %bb.22:
	ds_load_b64 v[14:15], v27 offset:2816
	ds_load_b64 v[16:17], v27 offset:5984
.LBB0_23:
	s_wait_alu 0xfffe
	s_or_b32 exec_lo, exec_lo, s1
	v_and_b32_e32 v13, 3, v22
	s_delay_alu instid0(VALU_DEP_1)
	v_lshlrev_b32_e32 v0, 3, v13
	global_load_b64 v[37:38], v0, s[8:9] offset:16
	v_and_or_b32 v0, 0xf8, v35, v13
	global_wb scope:SCOPE_SE
	s_wait_loadcnt_dscnt 0x0
	s_barrier_signal -1
	s_barrier_wait -1
	global_inv scope:SCOPE_SE
	v_dual_mul_f32 v41, v38, v9 :: v_dual_lshlrev_b32 v0, 3, v0
	s_delay_alu instid0(VALU_DEP_1)
	v_add3_u32 v35, 0, v0, v29
	v_mul_f32_e32 v0, v38, v4
	v_and_or_b32 v33, 0x3f8, v33, v13
	v_and_or_b32 v34, 0x1f8, v34, v13
	;; [unrolled: 1-line block ×3, first 2 shown]
	v_mul_f32_e32 v39, v38, v3
	s_delay_alu instid0(VALU_DEP_4)
	v_dual_mul_f32 v44, v38, v26 :: v_dual_lshlrev_b32 v33, 3, v33
	v_mul_f32_e32 v40, v38, v10
	v_dual_mul_f32 v42, v38, v12 :: v_dual_fmac_f32 v41, v37, v10
	v_dual_mul_f32 v43, v38, v11 :: v_dual_lshlrev_b32 v34, 3, v34
	v_dual_mul_f32 v45, v38, v25 :: v_dual_lshlrev_b32 v32, 3, v32
	v_fma_f32 v0, v37, v3, -v0
	v_mul_f32_e32 v46, v17, v38
	s_delay_alu instid0(VALU_DEP_4) | instskip(SKIP_4) | instid1(VALU_DEP_4)
	v_dual_mul_f32 v38, v16, v38 :: v_dual_fmac_f32 v43, v37, v12
	v_fmac_f32_e32 v39, v37, v4
	v_fma_f32 v25, v37, v25, -v44
	v_fma_f32 v9, v37, v9, -v40
	;; [unrolled: 1-line block ×3, first 2 shown]
	v_dual_fmac_f32 v45, v37, v26 :: v_dual_sub_f32 v4, v19, v39
	v_dual_fmac_f32 v38, v17, v37 :: v_dual_sub_f32 v3, v18, v0
	s_delay_alu instid0(VALU_DEP_3)
	v_sub_f32_e32 v11, v7, v11
	v_fma_f32 v26, v16, v37, -v46
	v_sub_f32_e32 v16, v1, v25
	v_dual_sub_f32 v9, v5, v9 :: v_dual_sub_f32 v12, v8, v43
	v_sub_f32_e32 v10, v6, v41
	v_sub_f32_e32 v17, v2, v45
	;; [unrolled: 1-line block ×3, first 2 shown]
	v_fma_f32 v18, v18, 2.0, -v3
	v_fma_f32 v19, v19, 2.0, -v4
	;; [unrolled: 1-line block ×3, first 2 shown]
	v_sub_f32_e32 v1, v15, v38
	v_add3_u32 v34, 0, v34, v29
	v_fma_f32 v5, v5, 2.0, -v9
	v_fma_f32 v6, v6, 2.0, -v10
	v_add3_u32 v33, 0, v33, v29
	v_fma_f32 v7, v7, 2.0, -v11
	v_fma_f32 v8, v8, 2.0, -v12
	v_add3_u32 v32, 0, v32, v29
	v_fma_f32 v26, v2, 2.0, -v17
	ds_store_2addr_b64 v35, v[18:19], v[3:4] offset1:4
	ds_store_2addr_b64 v34, v[5:6], v[9:10] offset1:4
	ds_store_2addr_b64 v33, v[7:8], v[11:12] offset1:4
	ds_store_2addr_b64 v32, v[25:26], v[16:17] offset1:4
	s_and_saveexec_b32 s1, s0
	s_cbranch_execz .LBB0_25
; %bb.24:
	v_and_or_b32 v2, 0x3f8, v36, v13
	v_fma_f32 v3, v15, 2.0, -v1
	s_delay_alu instid0(VALU_DEP_2) | instskip(SKIP_1) | instid1(VALU_DEP_2)
	v_lshlrev_b32_e32 v4, 3, v2
	v_fma_f32 v2, v14, 2.0, -v0
	v_add3_u32 v4, 0, v4, v29
	ds_store_2addr_b64 v4, v[2:3], v[0:1] offset1:4
.LBB0_25:
	s_wait_alu 0xfffe
	s_or_b32 exec_lo, exec_lo, s1
	v_and_b32_e32 v37, 7, v22
	global_wb scope:SCOPE_SE
	s_wait_dscnt 0x0
	s_barrier_signal -1
	s_barrier_wait -1
	global_inv scope:SCOPE_SE
	v_lshlrev_b32_e32 v2, 4, v37
	ds_load_b64 v[25:26], v28
	ds_load_2addr_b64 v[8:11], v27 offset0:88 offset1:176
	v_lshrrev_b32_e32 v38, 3, v22
	v_lshrrev_b32_e32 v39, 3, v30
	global_load_b128 v[4:7], v2, s[8:9] offset:48
	v_add_nc_u32_e32 v32, 0x800, v27
	v_add_nc_u32_e32 v3, 0xc00, v27
	;; [unrolled: 1-line block ×3, first 2 shown]
	v_lshrrev_b32_e32 v40, 3, v31
	ds_load_2addr_b64 v[12:15], v32 offset0:8 offset1:96
	ds_load_2addr_b64 v[16:19], v3 offset0:56 offset1:144
	;; [unrolled: 1-line block ×3, first 2 shown]
	v_and_b32_e32 v41, 0xff, v22
	v_and_b32_e32 v42, 0xff, v30
	;; [unrolled: 1-line block ×3, first 2 shown]
	v_mul_u32_u24_e32 v38, 24, v38
	v_mul_u32_u24_e32 v39, 24, v39
	;; [unrolled: 1-line block ×3, first 2 shown]
	global_wb scope:SCOPE_SE
	s_wait_loadcnt_dscnt 0x0
	s_barrier_signal -1
	s_barrier_wait -1
	global_inv scope:SCOPE_SE
	v_cmp_gt_u32_e64 s0, 0x48, v22
	v_mul_f32_e32 v54, v5, v17
	v_mul_f32_e32 v48, v7, v19
	v_mul_lo_u16 v41, 0xab, v41
	v_mul_f32_e32 v53, v7, v33
	v_mul_lo_u16 v42, 0xab, v42
	v_mul_u32_u24_e32 v43, 0xaaab, v43
	v_mul_f32_e32 v46, v5, v13
	v_lshrrev_b16 v41, 12, v41
	v_or_b32_e32 v38, v38, v37
	v_lshrrev_b16 v42, 12, v42
	v_or_b32_e32 v39, v39, v37
	v_or_b32_e32 v37, v40, v37
	v_lshrrev_b32_e32 v43, 20, v43
	v_mul_lo_u16 v40, v41, 24
	v_mul_lo_u16 v44, v42, 24
	v_mul_f32_e32 v47, v5, v12
	v_mul_f32_e32 v49, v7, v18
	v_mul_lo_u16 v45, v43, 24
	v_sub_nc_u16 v40, v22, v40
	v_sub_nc_u16 v30, v30, v44
	v_dual_mul_f32 v17, v4, v17 :: v_dual_lshlrev_b32 v38, 3, v38
	s_delay_alu instid0(VALU_DEP_4) | instskip(NEXT) | instid1(VALU_DEP_4)
	v_sub_nc_u16 v31, v31, v45
	v_dual_mul_f32 v56, v7, v35 :: v_dual_and_b32 v45, 0xff, v40
	s_delay_alu instid0(VALU_DEP_4) | instskip(SKIP_1) | instid1(VALU_DEP_3)
	v_dual_mul_f32 v55, v7, v36 :: v_dual_and_b32 v30, 0xff, v30
	v_dual_mul_f32 v50, v5, v15 :: v_dual_lshlrev_b32 v37, 3, v37
	v_dual_fmac_f32 v49, v6, v19 :: v_dual_lshlrev_b32 v40, 4, v45
	s_delay_alu instid0(VALU_DEP_3)
	v_dual_fmac_f32 v47, v4, v13 :: v_dual_lshlrev_b32 v44, 4, v30
	v_mul_f32_e32 v51, v5, v14
	v_mul_f32_e32 v52, v7, v34
	v_fma_f32 v7, v4, v12, -v46
	v_fma_f32 v12, v6, v18, -v48
	;; [unrolled: 1-line block ×3, first 2 shown]
	v_fmac_f32_e32 v51, v4, v15
	v_fma_f32 v14, v6, v33, -v52
	v_fma_f32 v4, v4, v16, -v54
	v_dual_fmac_f32 v17, v5, v16 :: v_dual_add_f32 v18, v26, v47
	v_dual_sub_f32 v16, v47, v49 :: v_dual_fmac_f32 v53, v6, v34
	v_dual_fmac_f32 v56, v6, v36 :: v_dual_lshlrev_b32 v39, 3, v39
	v_and_b32_e32 v31, 0xffff, v31
	v_fma_f32 v15, v6, v35, -v55
	v_add_f32_e32 v6, v7, v12
	v_dual_add_f32 v19, v47, v49 :: v_dual_add_f32 v34, v13, v14
	v_add_f32_e32 v36, v9, v51
	v_dual_add_f32 v5, v25, v7 :: v_dual_add_f32 v46, v51, v53
	v_dual_sub_f32 v33, v7, v12 :: v_dual_add_f32 v48, v4, v15
	v_dual_add_f32 v7, v8, v13 :: v_dual_sub_f32 v50, v17, v56
	v_dual_sub_f32 v35, v51, v53 :: v_dual_sub_f32 v52, v4, v15
	v_add_f32_e32 v51, v11, v17
	v_fma_f32 v25, -0.5, v6, v25
	v_add_f32_e32 v17, v17, v56
	v_dual_sub_f32 v47, v13, v14 :: v_dual_fmac_f32 v26, -0.5, v19
	v_dual_add_f32 v13, v10, v4 :: v_dual_add_f32 v6, v7, v14
	v_fma_f32 v8, -0.5, v34, v8
	v_fma_f32 v9, -0.5, v46, v9
	;; [unrolled: 1-line block ×3, first 2 shown]
	v_fmamk_f32 v14, v16, 0x3f5db3d7, v25
	v_fmac_f32_e32 v11, -0.5, v17
	v_add3_u32 v38, 0, v38, v29
	v_dual_add_f32 v4, v5, v12 :: v_dual_add_f32 v5, v18, v49
	v_add_f32_e32 v12, v13, v15
	v_fmamk_f32 v15, v33, 0xbf5db3d7, v26
	v_dual_add_f32 v13, v51, v56 :: v_dual_fmac_f32 v26, 0x3f5db3d7, v33
	v_fmac_f32_e32 v25, 0xbf5db3d7, v16
	v_add3_u32 v39, 0, v39, v29
	v_dual_add_f32 v7, v36, v53 :: v_dual_fmamk_f32 v16, v35, 0x3f5db3d7, v8
	v_dual_fmamk_f32 v17, v47, 0xbf5db3d7, v9 :: v_dual_fmac_f32 v8, 0xbf5db3d7, v35
	v_dual_fmac_f32 v9, 0x3f5db3d7, v47 :: v_dual_fmamk_f32 v18, v50, 0x3f5db3d7, v10
	v_add3_u32 v37, 0, v37, v29
	v_dual_fmamk_f32 v19, v52, 0xbf5db3d7, v11 :: v_dual_fmac_f32 v10, 0xbf5db3d7, v50
	v_fmac_f32_e32 v11, 0x3f5db3d7, v52
	ds_store_2addr_b64 v38, v[4:5], v[14:15] offset1:8
	ds_store_b64 v38, v[25:26] offset:128
	ds_store_2addr_b64 v39, v[6:7], v[16:17] offset1:8
	ds_store_b64 v39, v[8:9] offset:128
	ds_store_2addr_b64 v37, v[12:13], v[18:19] offset1:8
	ds_store_b64 v37, v[10:11] offset:128
	v_lshlrev_b32_e32 v4, 4, v31
	global_wb scope:SCOPE_SE
	s_wait_dscnt 0x0
	s_barrier_signal -1
	s_barrier_wait -1
	global_inv scope:SCOPE_SE
	s_clause 0x2
	global_load_b128 v[12:15], v40, s[8:9] offset:176
	global_load_b128 v[16:19], v44, s[8:9] offset:176
	;; [unrolled: 1-line block ×3, first 2 shown]
	v_and_b32_e32 v4, 0xffff, v41
	v_and_b32_e32 v5, 0xffff, v42
	v_mad_u32_u24 v6, 0x240, v43, 0
	ds_load_2addr_b64 v[41:44], v3 offset0:56 offset1:144
	v_lshlrev_b32_e32 v7, 3, v45
	ds_load_2addr_b64 v[45:48], v2 offset0:104 offset1:192
	ds_load_2addr_b64 v[37:40], v32 offset0:8 offset1:96
	v_mad_u32_u24 v4, 0x240, v4, 0
	v_lshlrev_b32_e32 v8, 3, v30
	s_wait_loadcnt_dscnt 0x101
	v_dual_mul_f32 v26, v19, v46 :: v_dual_lshlrev_b32 v9, 3, v31
	s_wait_loadcnt 0x0
	v_mul_f32_e32 v49, v34, v42
	v_mul_f32_e32 v34, v34, v41
	v_mad_u32_u24 v5, 0x240, v5, 0
	v_mul_f32_e32 v50, v48, v36
	v_add3_u32 v30, v4, v7, v29
	v_mul_f32_e32 v36, v47, v36
	s_wait_dscnt 0x0
	v_mul_f32_e32 v4, v13, v38
	v_add3_u32 v31, v5, v8, v29
	v_add3_u32 v29, v6, v9, v29
	ds_load_b64 v[6:7], v28
	ds_load_2addr_b64 v[8:11], v27 offset0:88 offset1:176
	v_dual_mul_f32 v5, v13, v37 :: v_dual_fmac_f32 v36, v48, v35
	v_mul_f32_e32 v13, v15, v44
	v_dual_mul_f32 v15, v15, v43 :: v_dual_fmac_f32 v34, v33, v42
	v_mul_f32_e32 v25, v17, v40
	v_fma_f32 v4, v12, v37, -v4
	v_fmac_f32_e32 v5, v12, v38
	v_fma_f32 v12, v14, v43, -v13
	v_mul_f32_e32 v17, v17, v39
	v_fma_f32 v13, v16, v39, -v25
	v_fmac_f32_e32 v15, v14, v44
	v_fma_f32 v14, v18, v45, -v26
	v_dual_mul_f32 v19, v19, v45 :: v_dual_add_f32 v26, v4, v12
	v_fmac_f32_e32 v17, v16, v40
	s_delay_alu instid0(VALU_DEP_3) | instskip(SKIP_1) | instid1(VALU_DEP_4)
	v_dual_sub_f32 v45, v34, v36 :: v_dual_add_f32 v38, v13, v14
	v_sub_f32_e32 v42, v13, v14
	v_fmac_f32_e32 v19, v18, v46
	v_fma_f32 v18, v47, v35, -v50
	s_wait_dscnt 0x0
	v_add_f32_e32 v46, v11, v34
	v_add_f32_e32 v40, v9, v17
	v_fma_f32 v16, v33, v41, -v49
	v_add_f32_e32 v25, v6, v4
	v_add_f32_e32 v34, v34, v36
	v_fma_f32 v6, -0.5, v26, v6
	v_sub_f32_e32 v37, v4, v12
	v_add_f32_e32 v44, v16, v18
	v_dual_add_f32 v4, v8, v13 :: v_dual_sub_f32 v33, v5, v15
	v_add_f32_e32 v35, v7, v5
	v_add_f32_e32 v25, v25, v12
	v_fma_f32 v12, -0.5, v38, v8
	v_add_f32_e32 v43, v10, v16
	v_fma_f32 v10, -0.5, v44, v10
	v_add_f32_e32 v5, v5, v15
	v_sub_f32_e32 v47, v16, v18
	v_add_f32_e32 v16, v4, v14
	v_fmamk_f32 v4, v33, 0x3f5db3d7, v6
	v_fmamk_f32 v8, v45, 0x3f5db3d7, v10
	v_add_f32_e32 v26, v35, v15
	v_dual_sub_f32 v39, v17, v19 :: v_dual_fmac_f32 v10, 0xbf5db3d7, v45
	v_dual_add_f32 v41, v17, v19 :: v_dual_add_f32 v14, v43, v18
	s_delay_alu instid0(VALU_DEP_2) | instskip(SKIP_1) | instid1(VALU_DEP_3)
	v_dual_fmac_f32 v7, -0.5, v5 :: v_dual_fmamk_f32 v18, v39, 0x3f5db3d7, v12
	v_fmac_f32_e32 v11, -0.5, v34
	v_fma_f32 v13, -0.5, v41, v9
	v_add_f32_e32 v17, v40, v19
	v_dual_add_f32 v15, v46, v36 :: v_dual_fmac_f32 v6, 0xbf5db3d7, v33
	v_fmamk_f32 v5, v37, 0xbf5db3d7, v7
	v_fmac_f32_e32 v7, 0x3f5db3d7, v37
	v_dual_fmac_f32 v12, 0xbf5db3d7, v39 :: v_dual_fmamk_f32 v19, v42, 0xbf5db3d7, v13
	v_fmac_f32_e32 v13, 0x3f5db3d7, v42
	v_fmamk_f32 v9, v47, 0xbf5db3d7, v11
	v_fmac_f32_e32 v11, 0x3f5db3d7, v47
	global_wb scope:SCOPE_SE
	s_barrier_signal -1
	s_barrier_wait -1
	global_inv scope:SCOPE_SE
	ds_store_2addr_b64 v30, v[25:26], v[4:5] offset1:24
	ds_store_b64 v30, v[6:7] offset:384
	ds_store_2addr_b64 v31, v[16:17], v[18:19] offset1:24
	ds_store_b64 v31, v[12:13] offset:384
	;; [unrolled: 2-line block ×3, first 2 shown]
	global_wb scope:SCOPE_SE
	s_wait_dscnt 0x0
	s_barrier_signal -1
	s_barrier_wait -1
	global_inv scope:SCOPE_SE
	s_and_saveexec_b32 s1, s0
	s_cbranch_execz .LBB0_27
; %bb.26:
	v_add_nc_u32_e32 v0, 0x400, v27
	ds_load_b64 v[25:26], v28
	ds_load_2addr_b64 v[4:7], v27 offset0:72 offset1:144
	ds_load_2addr_b64 v[12:15], v32 offset0:104 offset1:176
	;; [unrolled: 1-line block ×5, first 2 shown]
.LBB0_27:
	s_wait_alu 0xfffe
	s_or_b32 exec_lo, exec_lo, s1
	v_cmp_gt_u32_e64 s1, 0x48, v22
	s_delay_alu instid0(VALU_DEP_1)
	s_and_b32 s1, vcc_lo, s1
	s_wait_alu 0xfffe
	s_and_saveexec_b32 s4, s1
	s_cbranch_execz .LBB0_29
; %bb.28:
	v_add_nc_u32_e32 v27, 0xffffffb8, v22
	v_mov_b32_e32 v47, 0
	v_mul_lo_u32 v48, s3, v23
	v_mul_lo_u32 v49, s2, v24
	v_mad_co_u64_u32 v[23:24], null, s2, v23, 0
	v_cndmask_b32_e64 v27, v27, v22, s0
	v_lshlrev_b64_e32 v[20:21], 3, v[20:21]
	s_delay_alu instid0(VALU_DEP_2) | instskip(NEXT) | instid1(VALU_DEP_4)
	v_mul_i32_i24_e32 v46, 10, v27
	v_add3_u32 v24, v24, v49, v48
	s_delay_alu instid0(VALU_DEP_2) | instskip(NEXT) | instid1(VALU_DEP_2)
	v_lshlrev_b64_e32 v[27:28], 3, v[46:47]
	v_lshlrev_b64_e32 v[48:49], 3, v[23:24]
	s_delay_alu instid0(VALU_DEP_2) | instskip(SKIP_1) | instid1(VALU_DEP_3)
	v_add_co_u32 v43, vcc_lo, s8, v27
	s_wait_alu 0xfffd
	v_add_co_ci_u32_e32 v44, vcc_lo, s9, v28, vcc_lo
	s_delay_alu instid0(VALU_DEP_3)
	v_add_co_u32 v24, vcc_lo, s6, v48
	s_clause 0x4
	global_load_b128 v[27:30], v[43:44], off offset:624
	global_load_b128 v[31:34], v[43:44], off offset:560
	global_load_b128 v[35:38], v[43:44], off offset:608
	global_load_b128 v[39:42], v[43:44], off offset:576
	global_load_b128 v[43:46], v[43:44], off offset:592
	v_mov_b32_e32 v23, v47
	s_wait_alu 0xfffd
	v_add_co_ci_u32_e32 v47, vcc_lo, s7, v49, vcc_lo
	v_add_co_u32 v20, vcc_lo, v24, v20
	s_wait_alu 0xfffd
	s_delay_alu instid0(VALU_DEP_2)
	v_add_co_ci_u32_e32 v21, vcc_lo, v47, v21, vcc_lo
	s_wait_loadcnt_dscnt 0x400
	v_mul_f32_e32 v48, v1, v28
	v_lshlrev_b64_e32 v[22:23], 3, v[22:23]
	s_wait_loadcnt 0x1
	v_dual_mul_f32 v47, v7, v33 :: v_dual_mul_f32 v50, v17, v39
	v_mul_f32_e32 v24, v3, v30
	s_wait_loadcnt 0x0
	v_dual_mul_f32 v7, v7, v34 :: v_dual_mul_f32 v54, v13, v43
	v_add_co_u32 v20, vcc_lo, v20, v22
	s_wait_alu 0xfffd
	v_add_co_ci_u32_e32 v21, vcc_lo, v21, v23, vcc_lo
	v_dual_mul_f32 v23, v5, v31 :: v_dual_mul_f32 v52, v19, v41
	v_mul_f32_e32 v49, v11, v37
	v_dual_mul_f32 v22, v3, v29 :: v_dual_mul_f32 v5, v5, v32
	v_dual_mul_f32 v3, v1, v27 :: v_dual_fmac_f32 v50, v16, v40
	s_delay_alu instid0(VALU_DEP_4) | instskip(NEXT) | instid1(VALU_DEP_4)
	v_fmac_f32_e32 v52, v18, v42
	v_fmac_f32_e32 v49, v10, v38
	v_mul_f32_e32 v53, v15, v45
	v_dual_mul_f32 v11, v11, v38 :: v_dual_fmac_f32 v54, v12, v44
	v_fmac_f32_e32 v22, v2, v30
	v_fma_f32 v1, v2, v29, -v24
	s_delay_alu instid0(VALU_DEP_4)
	v_fmac_f32_e32 v53, v14, v46
	v_fmac_f32_e32 v23, v4, v32
	v_fma_f32 v4, v4, v31, -v5
	v_mul_f32_e32 v19, v19, v42
	v_fmac_f32_e32 v3, v0, v28
	v_fmac_f32_e32 v47, v6, v34
	v_fma_f32 v2, v6, v33, -v7
	v_fma_f32 v0, v0, v27, -v48
	;; [unrolled: 1-line block ×3, first 2 shown]
	v_sub_f32_e32 v11, v4, v1
	v_add_f32_e32 v27, v1, v4
	v_add_f32_e32 v4, v25, v4
	v_fma_f32 v6, v18, v41, -v19
	v_add_f32_e32 v18, v53, v54
	v_dual_mul_f32 v51, v9, v35 :: v_dual_sub_f32 v28, v23, v22
	v_dual_mul_f32 v17, v17, v40 :: v_dual_add_f32 v10, v22, v23
	v_add_f32_e32 v29, v0, v2
	s_delay_alu instid0(VALU_DEP_3) | instskip(NEXT) | instid1(VALU_DEP_4)
	v_fmac_f32_e32 v51, v8, v36
	v_mul_f32_e32 v56, 0xbe903f40, v28
	s_delay_alu instid0(VALU_DEP_4) | instskip(SKIP_1) | instid1(VALU_DEP_4)
	v_fma_f32 v5, v16, v39, -v17
	v_mul_f32_e32 v15, v15, v46
	v_dual_add_f32 v23, v26, v23 :: v_dual_add_f32 v16, v51, v52
	s_delay_alu instid0(VALU_DEP_3) | instskip(SKIP_1) | instid1(VALU_DEP_3)
	v_dual_mul_f32 v9, v9, v36 :: v_dual_add_f32 v32, v24, v5
	v_mul_f32_e32 v42, 0xbf7d64f0, v28
	v_mul_f32_e32 v40, 0x3f575c64, v16
	s_delay_alu instid0(VALU_DEP_3) | instskip(SKIP_3) | instid1(VALU_DEP_4)
	v_fma_f32 v7, v8, v35, -v9
	v_fma_f32 v9, v14, v45, -v15
	v_dual_sub_f32 v15, v5, v24 :: v_dual_mul_f32 v58, 0xbf4178ce, v11
	v_mul_f32_e32 v48, 0x3ed4b147, v16
	v_dual_add_f32 v34, v7, v6 :: v_dual_mul_f32 v13, v13, v44
	v_sub_f32_e32 v30, v47, v3
	v_dual_sub_f32 v17, v6, v7 :: v_dual_mul_f32 v44, 0xbf75a155, v10
	v_sub_f32_e32 v33, v52, v51
	s_delay_alu instid0(VALU_DEP_4) | instskip(SKIP_3) | instid1(VALU_DEP_4)
	v_fma_f32 v8, v12, v43, -v13
	v_add_f32_e32 v12, v3, v47
	v_mul_f32_e32 v60, 0xbf0a6770, v15
	v_dual_mul_f32 v64, 0xbf68dda4, v11 :: v_dual_mul_f32 v69, 0xbf68dda4, v28
	v_dual_sub_f32 v19, v8, v9 :: v_dual_add_f32 v36, v9, v8
	v_dual_add_f32 v14, v49, v50 :: v_dual_sub_f32 v13, v2, v0
	v_dual_mul_f32 v45, 0x3f575c64, v12 :: v_dual_add_f32 v2, v4, v2
	v_mul_f32_e32 v4, 0x3f7d64f0, v30
	v_mul_f32_e32 v55, 0xbe11bafb, v18
	v_dual_sub_f32 v31, v50, v49 :: v_dual_mul_f32 v62, 0x3f68dda4, v19
	v_mul_f32_e32 v38, 0xbf75a155, v12
	s_delay_alu instid0(VALU_DEP_4)
	v_fma_f32 v107, 0xbe11bafb, v29, -v4
	v_fmac_f32_e32 v4, 0xbe11bafb, v29
	v_dual_mul_f32 v67, 0x3f7d64f0, v17 :: v_dual_fmamk_f32 v96, v19, 0x3f7d64f0, v55
	v_mul_f32_e32 v37, 0xbe11bafb, v10
	v_dual_sub_f32 v35, v54, v53 :: v_dual_mul_f32 v46, 0xbf27a4f4, v14
	v_mul_f32_e32 v59, 0x3f7d64f0, v13
	v_mul_f32_e32 v63, 0xbf4178ce, v28
	v_dual_mul_f32 v70, 0xbf0a6770, v11 :: v_dual_mul_f32 v79, 0xbf0a6770, v33
	v_dual_mul_f32 v28, 0xbf0a6770, v28 :: v_dual_add_f32 v23, v23, v47
	v_mul_f32_e32 v80, 0x3f68dda4, v33
	v_dual_mul_f32 v47, 0xbf4178ce, v30 :: v_dual_add_f32 v2, v2, v5
	v_mul_f32_e32 v81, 0xbe903f40, v33
	v_fmamk_f32 v86, v11, 0x3f7d64f0, v37
	v_fmamk_f32 v92, v11, 0x3e903f40, v44
	;; [unrolled: 1-line block ×3, first 2 shown]
	v_fmac_f32_e32 v44, 0xbe903f40, v11
	v_fmac_f32_e32 v37, 0xbf7d64f0, v11
	v_fma_f32 v11, 0xbe11bafb, v27, -v42
	v_dual_mul_f32 v41, 0xbf27a4f4, v18 :: v_dual_fmamk_f32 v98, v10, 0xbf27a4f4, v58
	v_dual_mul_f32 v43, 0x3e903f40, v30 :: v_dual_mul_f32 v66, 0x3e903f40, v15
	v_dual_mul_f32 v57, 0x3f0a6770, v30 :: v_dual_mul_f32 v68, 0x3f0a6770, v19
	;; [unrolled: 1-line block ×3, first 2 shown]
	v_dual_mul_f32 v65, 0xbf4178ce, v13 :: v_dual_add_f32 v86, v26, v86
	v_mul_f32_e32 v30, 0xbf68dda4, v30
	v_mul_f32_e32 v77, 0xbf0a6770, v31
	v_mul_f32_e32 v85, 0x3f68dda4, v35
	v_fmamk_f32 v89, v17, 0x3f0a6770, v40
	v_fmamk_f32 v91, v27, 0xbe11bafb, v42
	v_dual_fmamk_f32 v95, v17, 0xbf68dda4, v48 :: v_dual_add_f32 v2, v2, v6
	v_fmac_f32_e32 v48, 0x3f68dda4, v17
	v_fmac_f32_e32 v40, 0xbf0a6770, v17
	v_fma_f32 v42, 0xbf27a4f4, v10, -v58
	v_fmamk_f32 v87, v13, 0xbe903f40, v38
	v_fma_f32 v58, 0x3ed4b147, v10, -v64
	v_add_f32_e32 v11, v25, v11
	v_dual_mul_f32 v73, 0xbf4178ce, v17 :: v_dual_add_f32 v92, v26, v92
	v_fma_f32 v17, 0x3ed4b147, v27, -v69
	v_fmamk_f32 v94, v15, 0x3f4178ce, v46
	v_fmac_f32_e32 v46, 0xbf4178ce, v15
	v_fma_f32 v103, 0xbf27a4f4, v27, -v63
	v_dual_fmac_f32 v63, 0xbf27a4f4, v27 :: v_dual_add_f32 v2, v2, v8
	v_dual_mul_f32 v39, 0x3ed4b147, v14 :: v_dual_fmamk_f32 v102, v18, 0x3ed4b147, v62
	v_mul_f32_e32 v71, 0xbf68dda4, v13
	v_dual_mul_f32 v72, 0xbf7d64f0, v15 :: v_dual_add_f32 v23, v23, v50
	v_dual_mul_f32 v75, 0xbf4178ce, v31 :: v_dual_add_f32 v44, v26, v44
	v_dual_fmamk_f32 v90, v19, 0x3f4178ce, v41 :: v_dual_add_f32 v103, v25, v103
	v_dual_fmamk_f32 v97, v27, 0xbf75a155, v56 :: v_dual_fmamk_f32 v106, v29, 0xbf75a155, v43
	v_dual_fmamk_f32 v104, v18, 0x3f575c64, v68 :: v_dual_add_f32 v63, v25, v63
	v_dual_add_f32 v42, v26, v42 :: v_dual_fmac_f32 v45, 0x3f0a6770, v13
	v_add_f32_e32 v6, v86, v87
	v_dual_fmac_f32 v41, 0xbf4178ce, v19 :: v_dual_add_f32 v58, v26, v58
	v_dual_mul_f32 v82, 0x3f7d64f0, v33 :: v_dual_add_f32 v91, v25, v91
	v_fmac_f32_e32 v55, 0xbf7d64f0, v19
	v_fmamk_f32 v19, v10, 0x3f575c64, v70
	v_fmac_f32_e32 v38, 0x3e903f40, v13
	v_dual_fmamk_f32 v13, v10, 0x3ed4b147, v64 :: v_dual_add_f32 v4, v63, v4
	v_fma_f32 v10, 0x3f575c64, v10, -v70
	v_dual_mul_f32 v76, 0x3f68dda4, v31 :: v_dual_add_f32 v97, v25, v97
	v_dual_mul_f32 v33, 0xbf4178ce, v33 :: v_dual_add_f32 v98, v26, v98
	v_fma_f32 v56, 0xbf75a155, v27, -v56
	v_fmamk_f32 v99, v12, 0xbe11bafb, v59
	v_fma_f32 v64, 0x3f575c64, v27, -v28
	v_fmac_f32_e32 v69, 0x3ed4b147, v27
	v_fma_f32 v59, 0xbe11bafb, v12, -v59
	v_fma_f32 v109, 0x3ed4b147, v29, -v30
	v_fmac_f32_e32 v30, 0x3ed4b147, v29
	s_delay_alu instid0(VALU_DEP_4)
	v_dual_fmac_f32 v28, 0x3f575c64, v27 :: v_dual_add_f32 v69, v25, v69
	v_dual_fmamk_f32 v112, v34, 0x3f575c64, v79 :: v_dual_add_f32 v23, v23, v52
	v_add_f32_e32 v10, v26, v10
	v_add_f32_e32 v52, v92, v93
	v_dual_mul_f32 v78, 0x3e903f40, v31 :: v_dual_add_f32 v37, v26, v37
	v_dual_mul_f32 v31, 0xbf7d64f0, v31 :: v_dual_add_f32 v56, v25, v56
	v_dual_mul_f32 v83, 0xbf4178ce, v35 :: v_dual_add_f32 v64, v25, v64
	v_dual_mul_f32 v84, 0xbf7d64f0, v35 :: v_dual_add_f32 v13, v26, v13
	v_fmamk_f32 v88, v15, 0xbf68dda4, v39
	v_fmamk_f32 v100, v14, 0x3f575c64, v60
	;; [unrolled: 1-line block ×3, first 2 shown]
	v_fmac_f32_e32 v39, 0x3f68dda4, v15
	v_fmamk_f32 v70, v16, 0xbe11bafb, v67
	v_fmamk_f32 v105, v12, 0x3ed4b147, v71
	v_fma_f32 v60, 0x3f575c64, v14, -v60
	v_fma_f32 v61, 0xbf75a155, v16, -v61
	;; [unrolled: 1-line block ×7, first 2 shown]
	v_dual_fmac_f32 v47, 0xbf27a4f4, v29 :: v_dual_add_f32 v8, v42, v59
	v_fmamk_f32 v27, v14, 0xbf75a155, v66
	v_fma_f32 v66, 0xbf75a155, v14, -v66
	v_fmamk_f32 v50, v32, 0x3ed4b147, v76
	v_fma_f32 v110, 0xbf75a155, v32, -v78
	v_fmac_f32_e32 v78, 0xbf75a155, v32
	v_fma_f32 v111, 0xbe11bafb, v32, -v31
	v_fmac_f32_e32 v31, 0xbe11bafb, v32
	v_fma_f32 v79, 0x3f575c64, v34, -v79
	v_fma_f32 v113, 0xbf75a155, v34, -v81
	;; [unrolled: 1-line block ×3, first 2 shown]
	v_fmac_f32_e32 v82, 0xbe11bafb, v34
	v_fmamk_f32 v15, v12, 0xbf27a4f4, v65
	v_fma_f32 v65, 0xbf27a4f4, v12, -v65
	v_fma_f32 v12, 0x3ed4b147, v12, -v71
	v_fmamk_f32 v5, v32, 0xbf27a4f4, v75
	v_fmac_f32_e32 v81, 0xbf75a155, v34
	v_fma_f32 v115, 0xbf27a4f4, v34, -v33
	v_dual_fmac_f32 v33, 0xbf27a4f4, v34 :: v_dual_add_f32 v6, v6, v88
	v_add_f32_e32 v17, v25, v17
	v_add_f32_e32 v25, v25, v28
	v_fmamk_f32 v71, v14, 0xbe11bafb, v72
	v_fma_f32 v14, 0xbe11bafb, v14, -v72
	v_fmamk_f32 v72, v16, 0xbf27a4f4, v73
	v_fma_f32 v16, 0xbf27a4f4, v16, -v73
	;; [unrolled: 2-line block ×4, first 2 shown]
	v_fma_f32 v29, 0xbf27a4f4, v32, -v75
	v_fma_f32 v75, 0x3ed4b147, v32, -v76
	v_fma_f32 v76, 0x3f575c64, v32, -v77
	v_fmac_f32_e32 v77, 0x3f575c64, v32
	v_fmamk_f32 v32, v34, 0x3ed4b147, v80
	v_fma_f32 v80, 0x3ed4b147, v34, -v80
	v_mul_f32_e32 v34, 0x3f0a6770, v35
	v_dual_add_f32 v19, v26, v19 :: v_dual_fmamk_f32 v26, v36, 0xbe11bafb, v84
	v_fma_f32 v28, 0xbe11bafb, v36, -v84
	v_dual_fmamk_f32 v84, v36, 0xbf27a4f4, v83 :: v_dual_add_f32 v37, v37, v38
	v_fma_f32 v116, 0x3ed4b147, v36, -v85
	v_dual_fmac_f32 v85, 0x3ed4b147, v36 :: v_dual_add_f32 v2, v9, v2
	v_fma_f32 v117, 0x3f575c64, v36, -v34
	v_fmac_f32_e32 v34, 0x3f575c64, v36
	v_add_f32_e32 v18, v97, v18
	v_add_f32_e32 v44, v44, v45
	;; [unrolled: 1-line block ×3, first 2 shown]
	v_mul_f32_e32 v35, 0xbe903f40, v35
	v_add_f32_e32 v57, v103, v107
	v_fma_f32 v83, 0xbf27a4f4, v36, -v83
	v_add_f32_e32 v56, v98, v99
	v_dual_add_f32 v11, v11, v43 :: v_dual_add_f32 v38, v58, v65
	s_delay_alu instid0(VALU_DEP_4)
	v_dual_add_f32 v43, v57, v76 :: v_dual_add_f32 v2, v7, v2
	v_add_f32_e32 v37, v37, v39
	v_dual_add_f32 v5, v18, v5 :: v_dual_add_f32 v18, v44, v46
	v_fma_f32 v118, 0xbf75a155, v36, -v35
	v_dual_fmac_f32 v35, 0xbf75a155, v36 :: v_dual_add_f32 v4, v4, v77
	v_dual_add_f32 v36, v91, v106 :: v_dual_add_f32 v13, v13, v15
	v_add_f32_e32 v8, v8, v60
	v_add_f32_e32 v10, v10, v12
	;; [unrolled: 1-line block ×3, first 2 shown]
	v_dual_add_f32 v12, v25, v30 :: v_dual_add_f32 v17, v19, v105
	v_add_f32_e32 v25, v36, v50
	v_add_f32_e32 v19, v64, v109
	v_dual_add_f32 v23, v23, v54 :: v_dual_add_f32 v6, v6, v89
	v_add_f32_e32 v42, v69, v47
	v_add_f32_e32 v30, v52, v94
	;; [unrolled: 1-line block ×4, first 2 shown]
	v_dual_add_f32 v14, v25, v112 :: v_dual_add_f32 v19, v19, v111
	v_dual_add_f32 v29, v45, v29 :: v_dual_add_f32 v18, v18, v48
	v_add_f32_e32 v13, v13, v27
	v_dual_add_f32 v15, v15, v110 :: v_dual_add_f32 v12, v12, v31
	v_add_f32_e32 v25, v30, v95
	;; [unrolled: 2-line block ×3, first 2 shown]
	v_dual_add_f32 v23, v53, v23 :: v_dual_add_f32 v32, v43, v113
	v_dual_add_f32 v27, v42, v78 :: v_dual_add_f32 v42, v4, v81
	;; [unrolled: 1-line block ×5, first 2 shown]
	s_delay_alu instid0(VALU_DEP_3) | instskip(SKIP_1) | instid1(VALU_DEP_3)
	v_add_f32_e32 v16, v19, v118
	v_add_f32_e32 v11, v11, v75
	v_dual_add_f32 v9, v38, v66 :: v_dual_add_f32 v8, v29, v28
	v_add_f32_e32 v5, v6, v90
	v_dual_add_f32 v6, v30, v26 :: v_dual_add_f32 v23, v51, v23
	s_delay_alu instid0(VALU_DEP_4) | instskip(SKIP_4) | instid1(VALU_DEP_4)
	v_dual_add_f32 v38, v13, v70 :: v_dual_add_f32 v37, v11, v79
	v_add_f32_e32 v2, v24, v2
	v_add_f32_e32 v39, v15, v114
	;; [unrolled: 1-line block ×4, first 2 shown]
	v_dual_add_f32 v17, v17, v72 :: v_dual_add_f32 v0, v0, v2
	s_delay_alu instid0(VALU_DEP_3) | instskip(SKIP_1) | instid1(VALU_DEP_2)
	v_dual_add_f32 v33, v12, v33 :: v_dual_add_f32 v24, v43, v68
	v_dual_add_f32 v9, v18, v55 :: v_dual_add_f32 v10, v32, v116
	;; [unrolled: 1-line block ×4, first 2 shown]
	v_add_f32_e32 v18, v42, v85
	v_dual_add_f32 v14, v39, v117 :: v_dual_add_f32 v7, v25, v96
	v_add_f32_e32 v25, v3, v23
	v_add_f32_e32 v19, v40, v62
	;; [unrolled: 1-line block ×6, first 2 shown]
	v_dual_add_f32 v3, v44, v74 :: v_dual_add_f32 v26, v22, v25
	v_add_f32_e32 v25, v1, v0
	s_clause 0xa
	global_store_b64 v[20:21], v[10:11], off offset:2304
	global_store_b64 v[20:21], v[8:9], off offset:2880
	;; [unrolled: 1-line block ×7, first 2 shown]
	global_store_b64 v[20:21], v[25:26], off
	global_store_b64 v[20:21], v[4:5], off offset:4608
	global_store_b64 v[20:21], v[23:24], off offset:5184
	;; [unrolled: 1-line block ×3, first 2 shown]
.LBB0_29:
	s_nop 0
	s_sendmsg sendmsg(MSG_DEALLOC_VGPRS)
	s_endpgm
	.section	.rodata,"a",@progbits
	.p2align	6, 0x0
	.amdhsa_kernel fft_rtc_fwd_len792_factors_2_2_2_3_3_11_wgs_176_tpt_88_sp_op_CI_CI_unitstride_sbrr_dirReg
		.amdhsa_group_segment_fixed_size 0
		.amdhsa_private_segment_fixed_size 0
		.amdhsa_kernarg_size 104
		.amdhsa_user_sgpr_count 2
		.amdhsa_user_sgpr_dispatch_ptr 0
		.amdhsa_user_sgpr_queue_ptr 0
		.amdhsa_user_sgpr_kernarg_segment_ptr 1
		.amdhsa_user_sgpr_dispatch_id 0
		.amdhsa_user_sgpr_private_segment_size 0
		.amdhsa_wavefront_size32 1
		.amdhsa_uses_dynamic_stack 0
		.amdhsa_enable_private_segment 0
		.amdhsa_system_sgpr_workgroup_id_x 1
		.amdhsa_system_sgpr_workgroup_id_y 0
		.amdhsa_system_sgpr_workgroup_id_z 0
		.amdhsa_system_sgpr_workgroup_info 0
		.amdhsa_system_vgpr_workitem_id 0
		.amdhsa_next_free_vgpr 119
		.amdhsa_next_free_sgpr 39
		.amdhsa_reserve_vcc 1
		.amdhsa_float_round_mode_32 0
		.amdhsa_float_round_mode_16_64 0
		.amdhsa_float_denorm_mode_32 3
		.amdhsa_float_denorm_mode_16_64 3
		.amdhsa_fp16_overflow 0
		.amdhsa_workgroup_processor_mode 1
		.amdhsa_memory_ordered 1
		.amdhsa_forward_progress 0
		.amdhsa_round_robin_scheduling 0
		.amdhsa_exception_fp_ieee_invalid_op 0
		.amdhsa_exception_fp_denorm_src 0
		.amdhsa_exception_fp_ieee_div_zero 0
		.amdhsa_exception_fp_ieee_overflow 0
		.amdhsa_exception_fp_ieee_underflow 0
		.amdhsa_exception_fp_ieee_inexact 0
		.amdhsa_exception_int_div_zero 0
	.end_amdhsa_kernel
	.text
.Lfunc_end0:
	.size	fft_rtc_fwd_len792_factors_2_2_2_3_3_11_wgs_176_tpt_88_sp_op_CI_CI_unitstride_sbrr_dirReg, .Lfunc_end0-fft_rtc_fwd_len792_factors_2_2_2_3_3_11_wgs_176_tpt_88_sp_op_CI_CI_unitstride_sbrr_dirReg
                                        ; -- End function
	.section	.AMDGPU.csdata,"",@progbits
; Kernel info:
; codeLenInByte = 7340
; NumSgprs: 41
; NumVgprs: 119
; ScratchSize: 0
; MemoryBound: 0
; FloatMode: 240
; IeeeMode: 1
; LDSByteSize: 0 bytes/workgroup (compile time only)
; SGPRBlocks: 5
; VGPRBlocks: 14
; NumSGPRsForWavesPerEU: 41
; NumVGPRsForWavesPerEU: 119
; Occupancy: 12
; WaveLimiterHint : 1
; COMPUTE_PGM_RSRC2:SCRATCH_EN: 0
; COMPUTE_PGM_RSRC2:USER_SGPR: 2
; COMPUTE_PGM_RSRC2:TRAP_HANDLER: 0
; COMPUTE_PGM_RSRC2:TGID_X_EN: 1
; COMPUTE_PGM_RSRC2:TGID_Y_EN: 0
; COMPUTE_PGM_RSRC2:TGID_Z_EN: 0
; COMPUTE_PGM_RSRC2:TIDIG_COMP_CNT: 0
	.text
	.p2alignl 7, 3214868480
	.fill 96, 4, 3214868480
	.type	__hip_cuid_cbc331532d85651c,@object ; @__hip_cuid_cbc331532d85651c
	.section	.bss,"aw",@nobits
	.globl	__hip_cuid_cbc331532d85651c
__hip_cuid_cbc331532d85651c:
	.byte	0                               ; 0x0
	.size	__hip_cuid_cbc331532d85651c, 1

	.ident	"AMD clang version 19.0.0git (https://github.com/RadeonOpenCompute/llvm-project roc-6.4.0 25133 c7fe45cf4b819c5991fe208aaa96edf142730f1d)"
	.section	".note.GNU-stack","",@progbits
	.addrsig
	.addrsig_sym __hip_cuid_cbc331532d85651c
	.amdgpu_metadata
---
amdhsa.kernels:
  - .args:
      - .actual_access:  read_only
        .address_space:  global
        .offset:         0
        .size:           8
        .value_kind:     global_buffer
      - .offset:         8
        .size:           8
        .value_kind:     by_value
      - .actual_access:  read_only
        .address_space:  global
        .offset:         16
        .size:           8
        .value_kind:     global_buffer
      - .actual_access:  read_only
        .address_space:  global
        .offset:         24
        .size:           8
        .value_kind:     global_buffer
      - .actual_access:  read_only
        .address_space:  global
        .offset:         32
        .size:           8
        .value_kind:     global_buffer
      - .offset:         40
        .size:           8
        .value_kind:     by_value
      - .actual_access:  read_only
        .address_space:  global
        .offset:         48
        .size:           8
        .value_kind:     global_buffer
      - .actual_access:  read_only
        .address_space:  global
        .offset:         56
        .size:           8
        .value_kind:     global_buffer
      - .offset:         64
        .size:           4
        .value_kind:     by_value
      - .actual_access:  read_only
        .address_space:  global
        .offset:         72
        .size:           8
        .value_kind:     global_buffer
      - .actual_access:  read_only
        .address_space:  global
        .offset:         80
        .size:           8
        .value_kind:     global_buffer
      - .actual_access:  read_only
        .address_space:  global
        .offset:         88
        .size:           8
        .value_kind:     global_buffer
      - .actual_access:  write_only
        .address_space:  global
        .offset:         96
        .size:           8
        .value_kind:     global_buffer
    .group_segment_fixed_size: 0
    .kernarg_segment_align: 8
    .kernarg_segment_size: 104
    .language:       OpenCL C
    .language_version:
      - 2
      - 0
    .max_flat_workgroup_size: 176
    .name:           fft_rtc_fwd_len792_factors_2_2_2_3_3_11_wgs_176_tpt_88_sp_op_CI_CI_unitstride_sbrr_dirReg
    .private_segment_fixed_size: 0
    .sgpr_count:     41
    .sgpr_spill_count: 0
    .symbol:         fft_rtc_fwd_len792_factors_2_2_2_3_3_11_wgs_176_tpt_88_sp_op_CI_CI_unitstride_sbrr_dirReg.kd
    .uniform_work_group_size: 1
    .uses_dynamic_stack: false
    .vgpr_count:     119
    .vgpr_spill_count: 0
    .wavefront_size: 32
    .workgroup_processor_mode: 1
amdhsa.target:   amdgcn-amd-amdhsa--gfx1201
amdhsa.version:
  - 1
  - 2
...

	.end_amdgpu_metadata
